;; amdgpu-corpus repo=ROCm/rocFFT kind=compiled arch=gfx1030 opt=O3
	.text
	.amdgcn_target "amdgcn-amd-amdhsa--gfx1030"
	.amdhsa_code_object_version 6
	.protected	fft_rtc_back_len880_factors_2_2_2_2_11_5_wgs_176_tpt_88_halfLds_dp_op_CI_CI_unitstride_sbrr_C2R_dirReg ; -- Begin function fft_rtc_back_len880_factors_2_2_2_2_11_5_wgs_176_tpt_88_halfLds_dp_op_CI_CI_unitstride_sbrr_C2R_dirReg
	.globl	fft_rtc_back_len880_factors_2_2_2_2_11_5_wgs_176_tpt_88_halfLds_dp_op_CI_CI_unitstride_sbrr_C2R_dirReg
	.p2align	8
	.type	fft_rtc_back_len880_factors_2_2_2_2_11_5_wgs_176_tpt_88_halfLds_dp_op_CI_CI_unitstride_sbrr_C2R_dirReg,@function
fft_rtc_back_len880_factors_2_2_2_2_11_5_wgs_176_tpt_88_halfLds_dp_op_CI_CI_unitstride_sbrr_C2R_dirReg: ; @fft_rtc_back_len880_factors_2_2_2_2_11_5_wgs_176_tpt_88_halfLds_dp_op_CI_CI_unitstride_sbrr_C2R_dirReg
; %bb.0:
	s_clause 0x2
	s_load_dwordx4 s[12:15], s[4:5], 0x0
	s_load_dwordx4 s[8:11], s[4:5], 0x58
	;; [unrolled: 1-line block ×3, first 2 shown]
	v_mul_u32_u24_e32 v1, 0x2e9, v0
	v_mov_b32_e32 v3, 0
	v_lshrrev_b32_e32 v7, 16, v1
	v_mov_b32_e32 v1, 0
	v_mov_b32_e32 v6, v3
	v_mov_b32_e32 v2, 0
	v_lshl_add_u32 v5, s6, 1, v7
	s_waitcnt lgkmcnt(0)
	v_cmp_lt_u64_e64 s0, s[14:15], 2
	s_and_b32 vcc_lo, exec_lo, s0
	s_cbranch_vccnz .LBB0_8
; %bb.1:
	s_load_dwordx2 s[0:1], s[4:5], 0x10
	v_mov_b32_e32 v1, 0
	v_mov_b32_e32 v2, 0
	s_add_u32 s2, s18, 8
	s_addc_u32 s3, s19, 0
	s_add_u32 s6, s16, 8
	s_addc_u32 s7, s17, 0
	v_mov_b32_e32 v53, v2
	v_mov_b32_e32 v52, v1
	s_mov_b64 s[22:23], 1
	s_waitcnt lgkmcnt(0)
	s_add_u32 s20, s0, 8
	s_addc_u32 s21, s1, 0
.LBB0_2:                                ; =>This Inner Loop Header: Depth=1
	s_load_dwordx2 s[24:25], s[20:21], 0x0
                                        ; implicit-def: $vgpr54_vgpr55
	s_mov_b32 s0, exec_lo
	s_waitcnt lgkmcnt(0)
	v_or_b32_e32 v4, s25, v6
	v_cmpx_ne_u64_e32 0, v[3:4]
	s_xor_b32 s1, exec_lo, s0
	s_cbranch_execz .LBB0_4
; %bb.3:                                ;   in Loop: Header=BB0_2 Depth=1
	v_cvt_f32_u32_e32 v4, s24
	v_cvt_f32_u32_e32 v8, s25
	s_sub_u32 s0, 0, s24
	s_subb_u32 s26, 0, s25
	v_fmac_f32_e32 v4, 0x4f800000, v8
	v_rcp_f32_e32 v4, v4
	v_mul_f32_e32 v4, 0x5f7ffffc, v4
	v_mul_f32_e32 v8, 0x2f800000, v4
	v_trunc_f32_e32 v8, v8
	v_fmac_f32_e32 v4, 0xcf800000, v8
	v_cvt_u32_f32_e32 v8, v8
	v_cvt_u32_f32_e32 v4, v4
	v_mul_lo_u32 v9, s0, v8
	v_mul_hi_u32 v10, s0, v4
	v_mul_lo_u32 v11, s26, v4
	v_add_nc_u32_e32 v9, v10, v9
	v_mul_lo_u32 v10, s0, v4
	v_add_nc_u32_e32 v9, v9, v11
	v_mul_hi_u32 v11, v4, v10
	v_mul_lo_u32 v12, v4, v9
	v_mul_hi_u32 v13, v4, v9
	v_mul_hi_u32 v14, v8, v10
	v_mul_lo_u32 v10, v8, v10
	v_mul_hi_u32 v15, v8, v9
	v_mul_lo_u32 v9, v8, v9
	v_add_co_u32 v11, vcc_lo, v11, v12
	v_add_co_ci_u32_e32 v12, vcc_lo, 0, v13, vcc_lo
	v_add_co_u32 v10, vcc_lo, v11, v10
	v_add_co_ci_u32_e32 v10, vcc_lo, v12, v14, vcc_lo
	v_add_co_ci_u32_e32 v11, vcc_lo, 0, v15, vcc_lo
	v_add_co_u32 v9, vcc_lo, v10, v9
	v_add_co_ci_u32_e32 v10, vcc_lo, 0, v11, vcc_lo
	v_add_co_u32 v4, vcc_lo, v4, v9
	v_add_co_ci_u32_e32 v8, vcc_lo, v8, v10, vcc_lo
	v_mul_hi_u32 v9, s0, v4
	v_mul_lo_u32 v11, s26, v4
	v_mul_lo_u32 v10, s0, v8
	v_add_nc_u32_e32 v9, v9, v10
	v_mul_lo_u32 v10, s0, v4
	v_add_nc_u32_e32 v9, v9, v11
	v_mul_hi_u32 v11, v4, v10
	v_mul_lo_u32 v12, v4, v9
	v_mul_hi_u32 v13, v4, v9
	v_mul_hi_u32 v14, v8, v10
	v_mul_lo_u32 v10, v8, v10
	v_mul_hi_u32 v15, v8, v9
	v_mul_lo_u32 v9, v8, v9
	v_add_co_u32 v11, vcc_lo, v11, v12
	v_add_co_ci_u32_e32 v12, vcc_lo, 0, v13, vcc_lo
	v_add_co_u32 v10, vcc_lo, v11, v10
	v_add_co_ci_u32_e32 v10, vcc_lo, v12, v14, vcc_lo
	v_add_co_ci_u32_e32 v11, vcc_lo, 0, v15, vcc_lo
	v_add_co_u32 v9, vcc_lo, v10, v9
	v_add_co_ci_u32_e32 v10, vcc_lo, 0, v11, vcc_lo
	v_add_co_u32 v4, vcc_lo, v4, v9
	v_add_co_ci_u32_e32 v12, vcc_lo, v8, v10, vcc_lo
	v_mul_hi_u32 v14, v5, v4
	v_mad_u64_u32 v[10:11], null, v6, v4, 0
	v_mad_u64_u32 v[8:9], null, v5, v12, 0
	v_mad_u64_u32 v[12:13], null, v6, v12, 0
	v_add_co_u32 v4, vcc_lo, v14, v8
	v_add_co_ci_u32_e32 v8, vcc_lo, 0, v9, vcc_lo
	v_add_co_u32 v4, vcc_lo, v4, v10
	v_add_co_ci_u32_e32 v4, vcc_lo, v8, v11, vcc_lo
	v_add_co_ci_u32_e32 v8, vcc_lo, 0, v13, vcc_lo
	v_add_co_u32 v4, vcc_lo, v4, v12
	v_add_co_ci_u32_e32 v10, vcc_lo, 0, v8, vcc_lo
	v_mul_lo_u32 v11, s25, v4
	v_mad_u64_u32 v[8:9], null, s24, v4, 0
	v_mul_lo_u32 v12, s24, v10
	v_sub_co_u32 v8, vcc_lo, v5, v8
	v_add3_u32 v9, v9, v12, v11
	v_sub_nc_u32_e32 v11, v6, v9
	v_subrev_co_ci_u32_e64 v11, s0, s25, v11, vcc_lo
	v_add_co_u32 v12, s0, v4, 2
	v_add_co_ci_u32_e64 v13, s0, 0, v10, s0
	v_sub_co_u32 v14, s0, v8, s24
	v_sub_co_ci_u32_e32 v9, vcc_lo, v6, v9, vcc_lo
	v_subrev_co_ci_u32_e64 v11, s0, 0, v11, s0
	v_cmp_le_u32_e32 vcc_lo, s24, v14
	v_cmp_eq_u32_e64 s0, s25, v9
	v_cndmask_b32_e64 v14, 0, -1, vcc_lo
	v_cmp_le_u32_e32 vcc_lo, s25, v11
	v_cndmask_b32_e64 v15, 0, -1, vcc_lo
	v_cmp_le_u32_e32 vcc_lo, s24, v8
	;; [unrolled: 2-line block ×3, first 2 shown]
	v_cndmask_b32_e64 v16, 0, -1, vcc_lo
	v_cmp_eq_u32_e32 vcc_lo, s25, v11
	v_cndmask_b32_e64 v8, v16, v8, s0
	v_cndmask_b32_e32 v11, v15, v14, vcc_lo
	v_add_co_u32 v14, vcc_lo, v4, 1
	v_add_co_ci_u32_e32 v15, vcc_lo, 0, v10, vcc_lo
	v_cmp_ne_u32_e32 vcc_lo, 0, v11
	v_cndmask_b32_e32 v9, v15, v13, vcc_lo
	v_cndmask_b32_e32 v11, v14, v12, vcc_lo
	v_cmp_ne_u32_e32 vcc_lo, 0, v8
	v_cndmask_b32_e32 v55, v10, v9, vcc_lo
	v_cndmask_b32_e32 v54, v4, v11, vcc_lo
.LBB0_4:                                ;   in Loop: Header=BB0_2 Depth=1
	s_andn2_saveexec_b32 s0, s1
	s_cbranch_execz .LBB0_6
; %bb.5:                                ;   in Loop: Header=BB0_2 Depth=1
	v_cvt_f32_u32_e32 v4, s24
	s_sub_i32 s1, 0, s24
	v_mov_b32_e32 v55, v3
	v_rcp_iflag_f32_e32 v4, v4
	v_mul_f32_e32 v4, 0x4f7ffffe, v4
	v_cvt_u32_f32_e32 v4, v4
	v_mul_lo_u32 v8, s1, v4
	v_mul_hi_u32 v8, v4, v8
	v_add_nc_u32_e32 v4, v4, v8
	v_mul_hi_u32 v4, v5, v4
	v_mul_lo_u32 v8, v4, s24
	v_add_nc_u32_e32 v9, 1, v4
	v_sub_nc_u32_e32 v8, v5, v8
	v_subrev_nc_u32_e32 v10, s24, v8
	v_cmp_le_u32_e32 vcc_lo, s24, v8
	v_cndmask_b32_e32 v8, v8, v10, vcc_lo
	v_cndmask_b32_e32 v4, v4, v9, vcc_lo
	v_cmp_le_u32_e32 vcc_lo, s24, v8
	v_add_nc_u32_e32 v9, 1, v4
	v_cndmask_b32_e32 v54, v4, v9, vcc_lo
.LBB0_6:                                ;   in Loop: Header=BB0_2 Depth=1
	s_or_b32 exec_lo, exec_lo, s0
	v_mul_lo_u32 v4, v55, s24
	v_mul_lo_u32 v10, v54, s25
	s_load_dwordx2 s[0:1], s[6:7], 0x0
	v_mad_u64_u32 v[8:9], null, v54, s24, 0
	s_load_dwordx2 s[24:25], s[2:3], 0x0
	s_add_u32 s22, s22, 1
	s_addc_u32 s23, s23, 0
	s_add_u32 s2, s2, 8
	s_addc_u32 s3, s3, 0
	s_add_u32 s6, s6, 8
	v_add3_u32 v4, v9, v10, v4
	v_sub_co_u32 v5, vcc_lo, v5, v8
	s_addc_u32 s7, s7, 0
	s_add_u32 s20, s20, 8
	v_sub_co_ci_u32_e32 v4, vcc_lo, v6, v4, vcc_lo
	s_addc_u32 s21, s21, 0
	s_waitcnt lgkmcnt(0)
	v_mul_lo_u32 v6, s0, v4
	v_mul_lo_u32 v8, s1, v5
	v_mad_u64_u32 v[1:2], null, s0, v5, v[1:2]
	v_mul_lo_u32 v4, s24, v4
	v_mul_lo_u32 v9, s25, v5
	v_mad_u64_u32 v[52:53], null, s24, v5, v[52:53]
	v_cmp_ge_u64_e64 s0, s[22:23], s[14:15]
	v_add3_u32 v2, v8, v2, v6
	v_add3_u32 v53, v9, v53, v4
	s_and_b32 vcc_lo, exec_lo, s0
	s_cbranch_vccnz .LBB0_9
; %bb.7:                                ;   in Loop: Header=BB0_2 Depth=1
	v_mov_b32_e32 v5, v54
	v_mov_b32_e32 v6, v55
	s_branch .LBB0_2
.LBB0_8:
	v_mov_b32_e32 v53, v2
	v_mov_b32_e32 v55, v6
	;; [unrolled: 1-line block ×4, first 2 shown]
.LBB0_9:
	s_load_dwordx2 s[0:1], s[4:5], 0x28
	v_and_b32_e32 v4, 1, v7
	v_mul_hi_u32 v3, 0x2e8ba2f, v0
	s_lshl_b64 s[4:5], s[14:15], 3
                                        ; implicit-def: $vgpr56
	s_add_u32 s2, s18, s4
	s_addc_u32 s3, s19, s5
	s_waitcnt lgkmcnt(0)
	v_cmp_gt_u64_e32 vcc_lo, s[0:1], v[54:55]
	v_cmp_le_u64_e64 s1, s[0:1], v[54:55]
	v_cmp_eq_u32_e64 s0, 1, v4
	s_and_saveexec_b32 s6, s1
	s_xor_b32 s1, exec_lo, s6
; %bb.10:
	v_mul_u32_u24_e32 v1, 0x58, v3
                                        ; implicit-def: $vgpr3
	v_sub_nc_u32_e32 v56, v0, v1
                                        ; implicit-def: $vgpr0
                                        ; implicit-def: $vgpr1_vgpr2
; %bb.11:
	s_or_saveexec_b32 s1, s1
	s_load_dwordx2 s[2:3], s[2:3], 0x0
	v_cndmask_b32_e64 v71, 0, 0x371, s0
	v_lshlrev_b32_e32 v76, 4, v71
	s_xor_b32 exec_lo, exec_lo, s1
	s_cbranch_execz .LBB0_15
; %bb.12:
	s_add_u32 s4, s16, s4
	s_addc_u32 s5, s17, s5
	v_lshlrev_b64 v[1:2], 4, v[1:2]
	s_load_dwordx2 s[4:5], s[4:5], 0x0
	s_waitcnt lgkmcnt(0)
	v_mul_lo_u32 v6, s5, v54
	v_mul_lo_u32 v7, s4, v55
	v_mad_u64_u32 v[4:5], null, s4, v54, 0
	s_mov_b32 s4, exec_lo
	v_add3_u32 v5, v5, v7, v6
	v_mul_u32_u24_e32 v6, 0x58, v3
	v_lshlrev_b64 v[3:4], 4, v[4:5]
	v_sub_nc_u32_e32 v56, v0, v6
	v_lshlrev_b32_e32 v43, 4, v56
	v_add_co_u32 v0, s0, s8, v3
	v_add_co_ci_u32_e64 v3, s0, s9, v4, s0
	v_add_co_u32 v0, s0, v0, v1
	v_add_co_ci_u32_e64 v1, s0, v3, v2, s0
	v_add3_u32 v2, 0, v76, v43
	v_add_co_u32 v11, s0, v0, v43
	v_add_co_ci_u32_e64 v12, s0, 0, v1, s0
	s_clause 0x1
	global_load_dwordx4 v[3:6], v[11:12], off
	global_load_dwordx4 v[7:10], v[11:12], off offset:1408
	v_add_co_u32 v13, s0, 0x800, v11
	v_add_co_ci_u32_e64 v14, s0, 0, v12, s0
	v_add_co_u32 v19, s0, 0x1000, v11
	v_add_co_ci_u32_e64 v20, s0, 0, v12, s0
	v_add_co_u32 v23, s0, 0x1800, v11
	v_add_co_ci_u32_e64 v24, s0, 0, v12, s0
	v_add_co_u32 v31, s0, 0x2000, v11
	v_add_co_ci_u32_e64 v32, s0, 0, v12, s0
	v_add_co_u32 v35, s0, 0x2800, v11
	v_add_co_ci_u32_e64 v36, s0, 0, v12, s0
	v_add_co_u32 v39, s0, 0x3000, v11
	v_add_co_ci_u32_e64 v40, s0, 0, v12, s0
	s_clause 0x7
	global_load_dwordx4 v[11:14], v[13:14], off offset:768
	global_load_dwordx4 v[15:18], v[19:20], off offset:128
	;; [unrolled: 1-line block ×8, first 2 shown]
	s_waitcnt vmcnt(9)
	ds_write_b128 v2, v[3:6]
	s_waitcnt vmcnt(8)
	ds_write_b128 v2, v[7:10] offset:1408
	s_waitcnt vmcnt(7)
	ds_write_b128 v2, v[11:14] offset:2816
	;; [unrolled: 2-line block ×9, first 2 shown]
	v_cmpx_eq_u32_e32 0x57, v56
	s_cbranch_execz .LBB0_14
; %bb.13:
	v_add_co_u32 v0, s0, 0x3000, v0
	v_add_co_ci_u32_e64 v1, s0, 0, v1, s0
	v_mov_b32_e32 v56, 0x57
	global_load_dwordx4 v[3:6], v[0:1], off offset:1792
	s_waitcnt vmcnt(0)
	ds_write_b128 v2, v[3:6] offset:12688
.LBB0_14:
	s_or_b32 exec_lo, exec_lo, s4
.LBB0_15:
	s_or_b32 exec_lo, exec_lo, s1
	v_lshl_add_u32 v72, v71, 4, 0
	v_lshlrev_b32_e32 v74, 4, v56
	s_waitcnt lgkmcnt(0)
	s_barrier
	buffer_gl0_inv
	s_add_u32 s1, s12, 0x36e0
	v_add_nc_u32_e32 v73, v72, v74
	v_sub_nc_u32_e32 v10, v72, v74
	s_addc_u32 s4, s13, 0
	s_mov_b32 s5, exec_lo
	ds_read_b64 v[6:7], v73
	ds_read_b64 v[8:9], v10 offset:14080
                                        ; implicit-def: $vgpr4_vgpr5
	s_waitcnt lgkmcnt(0)
	v_add_f64 v[0:1], v[6:7], v[8:9]
	v_add_f64 v[2:3], v[6:7], -v[8:9]
	v_cmpx_ne_u32_e32 0, v56
	s_xor_b32 s5, exec_lo, s5
	s_cbranch_execz .LBB0_17
; %bb.16:
	v_mov_b32_e32 v57, 0
	v_add_f64 v[13:14], v[6:7], v[8:9]
	v_add_f64 v[15:16], v[6:7], -v[8:9]
	v_lshlrev_b64 v[0:1], 4, v[56:57]
	v_add_co_u32 v0, s0, s1, v0
	v_add_co_ci_u32_e64 v1, s0, s4, v1, s0
	global_load_dwordx4 v[2:5], v[0:1], off
	ds_read_b64 v[0:1], v10 offset:14088
	ds_read_b64 v[11:12], v73 offset:8
	s_waitcnt lgkmcnt(0)
	v_add_f64 v[6:7], v[0:1], v[11:12]
	v_add_f64 v[0:1], v[11:12], -v[0:1]
	s_waitcnt vmcnt(0)
	v_fma_f64 v[8:9], v[15:16], v[4:5], v[13:14]
	v_fma_f64 v[11:12], -v[15:16], v[4:5], v[13:14]
	v_fma_f64 v[13:14], v[6:7], v[4:5], -v[0:1]
	v_fma_f64 v[4:5], v[6:7], v[4:5], v[0:1]
	v_fma_f64 v[0:1], -v[6:7], v[2:3], v[8:9]
	v_fma_f64 v[6:7], v[6:7], v[2:3], v[11:12]
	v_fma_f64 v[8:9], v[15:16], v[2:3], v[13:14]
	v_fma_f64 v[2:3], v[15:16], v[2:3], v[4:5]
	v_mov_b32_e32 v4, v56
	v_mov_b32_e32 v5, v57
	ds_write_b128 v10, v[6:9] offset:14080
.LBB0_17:
	s_andn2_saveexec_b32 s0, s5
	s_cbranch_execz .LBB0_19
; %bb.18:
	ds_read_b128 v[4:7], v72 offset:7040
	s_waitcnt lgkmcnt(0)
	v_add_f64 v[11:12], v[4:5], v[4:5]
	v_mul_f64 v[13:14], v[6:7], -2.0
	v_mov_b32_e32 v4, 0
	v_mov_b32_e32 v5, 0
	ds_write_b128 v72, v[11:14] offset:7040
.LBB0_19:
	s_or_b32 exec_lo, exec_lo, s0
	v_lshlrev_b64 v[4:5], 4, v[4:5]
	ds_write_b128 v73, v[0:3]
	v_add_nc_u32_e32 v40, 0, v74
	v_add_nc_u32_e32 v77, 0x58, v56
	;; [unrolled: 1-line block ×4, first 2 shown]
	v_add_co_u32 v8, s0, s1, v4
	v_add_co_ci_u32_e64 v9, s0, s4, v5, s0
	v_add_nc_u32_e32 v75, v40, v76
	v_add_co_u32 v11, s0, 0x800, v8
	global_load_dwordx4 v[4:7], v[8:9], off offset:1408
	v_add_co_ci_u32_e64 v12, s0, 0, v9, s0
	v_add_co_u32 v8, s0, 0x1000, v8
	v_add_co_ci_u32_e64 v9, s0, 0, v9, s0
	global_load_dwordx4 v[11:14], v[11:12], off offset:768
	v_add_nc_u32_e32 v69, 0x160, v56
	v_and_b32_e32 v70, 1, v56
	global_load_dwordx4 v[15:18], v[8:9], off offset:128
	ds_read_b128 v[0:3], v73 offset:1408
	ds_read_b128 v[19:22], v10 offset:12672
	global_load_dwordx4 v[23:26], v[8:9], off offset:1536
	v_add_nc_u32_e32 v78, v40, v74
	v_lshlrev_b32_e32 v40, 5, v77
	v_lshlrev_b32_e32 v41, 5, v67
	;; [unrolled: 1-line block ×5, first 2 shown]
	v_add_nc_u32_e32 v45, v78, v76
	v_add3_u32 v40, 0, v40, v76
	v_add3_u32 v41, 0, v41, v76
	v_add3_u32 v42, 0, v42, v76
	v_add3_u32 v43, 0, v43, v76
	v_and_b32_e32 v81, 7, v56
	v_cmp_gt_u32_e64 s0, 0x50, v56
	s_waitcnt lgkmcnt(0)
	v_add_f64 v[8:9], v[0:1], v[19:20]
	v_add_f64 v[27:28], v[21:22], v[2:3]
	v_add_f64 v[19:20], v[0:1], -v[19:20]
	v_add_f64 v[0:1], v[2:3], -v[21:22]
	s_waitcnt vmcnt(3)
	v_fma_f64 v[2:3], v[19:20], v[6:7], v[8:9]
	v_fma_f64 v[21:22], v[27:28], v[6:7], v[0:1]
	v_fma_f64 v[8:9], -v[19:20], v[6:7], v[8:9]
	v_fma_f64 v[29:30], v[27:28], v[6:7], -v[0:1]
	v_fma_f64 v[0:1], -v[27:28], v[4:5], v[2:3]
	v_fma_f64 v[2:3], v[19:20], v[4:5], v[21:22]
	v_fma_f64 v[6:7], v[27:28], v[4:5], v[8:9]
	v_fma_f64 v[8:9], v[19:20], v[4:5], v[29:30]
	ds_write_b128 v73, v[0:3] offset:1408
	ds_write_b128 v10, v[6:9] offset:12672
	ds_read_b128 v[0:3], v73 offset:2816
	ds_read_b128 v[4:7], v10 offset:11264
	s_waitcnt lgkmcnt(0)
	v_add_f64 v[8:9], v[0:1], v[4:5]
	v_add_f64 v[19:20], v[6:7], v[2:3]
	v_add_f64 v[21:22], v[0:1], -v[4:5]
	v_add_f64 v[0:1], v[2:3], -v[6:7]
	s_waitcnt vmcnt(2)
	v_fma_f64 v[2:3], v[21:22], v[13:14], v[8:9]
	v_fma_f64 v[4:5], v[19:20], v[13:14], v[0:1]
	v_fma_f64 v[6:7], -v[21:22], v[13:14], v[8:9]
	v_fma_f64 v[8:9], v[19:20], v[13:14], -v[0:1]
	v_fma_f64 v[0:1], -v[19:20], v[11:12], v[2:3]
	v_fma_f64 v[2:3], v[21:22], v[11:12], v[4:5]
	v_fma_f64 v[4:5], v[19:20], v[11:12], v[6:7]
	v_fma_f64 v[6:7], v[21:22], v[11:12], v[8:9]
	ds_write_b128 v73, v[0:3] offset:2816
	ds_write_b128 v10, v[4:7] offset:11264
	ds_read_b128 v[0:3], v73 offset:4224
	ds_read_b128 v[4:7], v10 offset:9856
	;; [unrolled: 18-line block ×3, first 2 shown]
	s_waitcnt lgkmcnt(0)
	v_add_f64 v[8:9], v[0:1], v[4:5]
	v_add_f64 v[11:12], v[6:7], v[2:3]
	v_add_f64 v[13:14], v[0:1], -v[4:5]
	v_add_f64 v[0:1], v[2:3], -v[6:7]
	s_waitcnt vmcnt(0)
	v_fma_f64 v[2:3], v[13:14], v[25:26], v[8:9]
	v_fma_f64 v[4:5], v[11:12], v[25:26], v[0:1]
	v_fma_f64 v[6:7], -v[13:14], v[25:26], v[8:9]
	v_fma_f64 v[8:9], v[11:12], v[25:26], -v[0:1]
	v_fma_f64 v[0:1], -v[11:12], v[23:24], v[2:3]
	v_fma_f64 v[2:3], v[13:14], v[23:24], v[4:5]
	v_fma_f64 v[4:5], v[11:12], v[23:24], v[6:7]
	;; [unrolled: 1-line block ×3, first 2 shown]
	ds_write_b128 v73, v[0:3] offset:5632
	ds_write_b128 v10, v[4:7] offset:8448
	s_waitcnt lgkmcnt(0)
	s_barrier
	buffer_gl0_inv
	s_barrier
	buffer_gl0_inv
	ds_read_b128 v[0:3], v75 offset:7040
	ds_read_b128 v[4:7], v73
	ds_read_b128 v[8:11], v75 offset:1408
	ds_read_b128 v[12:15], v75 offset:8448
	;; [unrolled: 1-line block ×8, first 2 shown]
	s_waitcnt lgkmcnt(0)
	s_barrier
	buffer_gl0_inv
	v_add_f64 v[0:1], v[4:5], -v[0:1]
	v_add_f64 v[2:3], v[6:7], -v[2:3]
	;; [unrolled: 1-line block ×10, first 2 shown]
	v_fma_f64 v[4:5], v[4:5], 2.0, -v[0:1]
	v_fma_f64 v[6:7], v[6:7], 2.0, -v[2:3]
	v_fma_f64 v[8:9], v[8:9], 2.0, -v[12:13]
	v_fma_f64 v[10:11], v[10:11], 2.0, -v[14:15]
	v_fma_f64 v[20:21], v[20:21], 2.0, -v[16:17]
	v_fma_f64 v[22:23], v[22:23], 2.0, -v[18:19]
	v_fma_f64 v[24:25], v[24:25], 2.0, -v[28:29]
	v_fma_f64 v[26:27], v[26:27], 2.0, -v[30:31]
	v_fma_f64 v[32:33], v[32:33], 2.0, -v[36:37]
	v_fma_f64 v[34:35], v[34:35], 2.0, -v[38:39]
	ds_write_b128 v45, v[0:3] offset:16
	ds_write_b128 v40, v[12:15] offset:16
	;; [unrolled: 1-line block ×5, first 2 shown]
	ds_write_b128 v45, v[4:7]
	ds_write_b128 v40, v[8:11]
	;; [unrolled: 1-line block ×5, first 2 shown]
	s_waitcnt lgkmcnt(0)
	s_barrier
	buffer_gl0_inv
	global_load_dwordx4 v[0:3], v44, s[12:13]
	ds_read_b128 v[4:7], v75 offset:7040
	ds_read_b128 v[8:11], v75 offset:8448
	;; [unrolled: 1-line block ×6, first 2 shown]
	ds_read_b128 v[28:31], v73
	ds_read_b128 v[32:35], v75 offset:1408
	ds_read_b128 v[36:39], v75 offset:2816
	;; [unrolled: 1-line block ×3, first 2 shown]
	s_waitcnt vmcnt(0) lgkmcnt(0)
	s_barrier
	buffer_gl0_inv
	v_mul_f64 v[44:45], v[6:7], v[2:3]
	v_mul_f64 v[46:47], v[4:5], v[2:3]
	;; [unrolled: 1-line block ×10, first 2 shown]
	v_fma_f64 v[4:5], v[4:5], v[0:1], v[44:45]
	v_fma_f64 v[6:7], v[6:7], v[0:1], -v[46:47]
	v_fma_f64 v[8:9], v[8:9], v[0:1], v[48:49]
	v_fma_f64 v[44:45], v[10:11], v[0:1], -v[50:51]
	;; [unrolled: 2-line block ×5, first 2 shown]
	v_lshlrev_b32_e32 v2, 1, v67
	v_lshlrev_b32_e32 v3, 1, v68
	v_add_f64 v[4:5], v[28:29], -v[4:5]
	v_add_f64 v[6:7], v[30:31], -v[6:7]
	;; [unrolled: 1-line block ×10, first 2 shown]
	v_lshlrev_b32_e32 v0, 1, v56
	v_lshlrev_b32_e32 v1, 1, v77
	;; [unrolled: 1-line block ×3, first 2 shown]
	v_and_or_b32 v57, 0x3fc, v2, v70
	v_and_b32_e32 v51, 3, v56
	v_and_or_b32 v48, 0xfc, v0, v70
	v_and_or_b32 v50, 0x1fc, v1, v70
	;; [unrolled: 1-line block ×4, first 2 shown]
	v_lshlrev_b32_e32 v49, 4, v51
	v_fma_f64 v[28:29], v[28:29], 2.0, -v[4:5]
	v_fma_f64 v[30:31], v[30:31], 2.0, -v[6:7]
	;; [unrolled: 1-line block ×10, first 2 shown]
	v_lshlrev_b32_e32 v25, 4, v48
	v_lshlrev_b32_e32 v26, 4, v50
	;; [unrolled: 1-line block ×5, first 2 shown]
	v_add3_u32 v25, 0, v25, v76
	v_add3_u32 v26, 0, v26, v76
	;; [unrolled: 1-line block ×5, first 2 shown]
	ds_write_b128 v25, v[4:7] offset:32
	ds_write_b128 v25, v[28:31]
	ds_write_b128 v26, v[32:35]
	ds_write_b128 v26, v[9:12] offset:32
	ds_write_b128 v27, v[36:39]
	ds_write_b128 v27, v[13:16] offset:32
	;; [unrolled: 2-line block ×4, first 2 shown]
	s_waitcnt lgkmcnt(0)
	s_barrier
	buffer_gl0_inv
	global_load_dwordx4 v[4:7], v49, s[12:13] offset:32
	ds_read_b128 v[9:12], v75 offset:7040
	ds_read_b128 v[13:16], v75 offset:8448
	;; [unrolled: 1-line block ×6, first 2 shown]
	ds_read_b128 v[33:36], v73
	ds_read_b128 v[37:40], v75 offset:1408
	ds_read_b128 v[41:44], v75 offset:2816
	;; [unrolled: 1-line block ×3, first 2 shown]
	s_waitcnt vmcnt(0) lgkmcnt(0)
	s_barrier
	buffer_gl0_inv
	v_mul_f64 v[49:50], v[11:12], v[6:7]
	v_mul_f64 v[57:58], v[9:10], v[6:7]
	;; [unrolled: 1-line block ×10, first 2 shown]
	v_fma_f64 v[9:10], v[9:10], v[4:5], v[49:50]
	v_fma_f64 v[11:12], v[11:12], v[4:5], -v[57:58]
	v_fma_f64 v[13:14], v[13:14], v[4:5], v[59:60]
	v_fma_f64 v[15:16], v[15:16], v[4:5], -v[61:62]
	;; [unrolled: 2-line block ×5, first 2 shown]
	v_and_or_b32 v49, 0xf8, v0, v51
	v_and_or_b32 v57, 0x1f8, v1, v51
	;; [unrolled: 1-line block ×5, first 2 shown]
	v_lshlrev_b32_e32 v50, 4, v81
	v_add_f64 v[4:5], v[33:34], -v[9:10]
	v_add_f64 v[6:7], v[35:36], -v[11:12]
	;; [unrolled: 1-line block ×10, first 2 shown]
	v_fma_f64 v[25:26], v[33:34], 2.0, -v[4:5]
	v_fma_f64 v[27:28], v[35:36], 2.0, -v[6:7]
	;; [unrolled: 1-line block ×10, first 2 shown]
	v_lshlrev_b32_e32 v45, 4, v49
	v_lshlrev_b32_e32 v46, 4, v57
	;; [unrolled: 1-line block ×5, first 2 shown]
	v_add3_u32 v45, 0, v45, v76
	v_add3_u32 v46, 0, v46, v76
	;; [unrolled: 1-line block ×5, first 2 shown]
	ds_write_b128 v45, v[4:7] offset:64
	ds_write_b128 v45, v[25:28]
	ds_write_b128 v46, v[33:36]
	ds_write_b128 v46, v[9:12] offset:64
	ds_write_b128 v47, v[37:40]
	ds_write_b128 v47, v[13:16] offset:64
	;; [unrolled: 2-line block ×4, first 2 shown]
	s_waitcnt lgkmcnt(0)
	s_barrier
	buffer_gl0_inv
	global_load_dwordx4 v[4:7], v50, s[12:13] offset:96
	ds_read_b128 v[9:12], v75 offset:7040
	ds_read_b128 v[13:16], v75 offset:8448
	;; [unrolled: 1-line block ×6, first 2 shown]
	ds_read_b128 v[36:39], v73
	ds_read_b128 v[40:43], v75 offset:1408
	ds_read_b128 v[48:51], v75 offset:2816
	;; [unrolled: 1-line block ×3, first 2 shown]
	s_waitcnt vmcnt(0) lgkmcnt(0)
	s_barrier
	buffer_gl0_inv
	v_mul_f64 v[29:30], v[11:12], v[6:7]
	v_mul_f64 v[31:32], v[9:10], v[6:7]
	;; [unrolled: 1-line block ×10, first 2 shown]
	v_fma_f64 v[9:10], v[9:10], v[4:5], v[29:30]
	v_fma_f64 v[11:12], v[11:12], v[4:5], -v[31:32]
	v_fma_f64 v[13:14], v[13:14], v[4:5], v[33:34]
	v_fma_f64 v[15:16], v[15:16], v[4:5], -v[61:62]
	;; [unrolled: 2-line block ×5, first 2 shown]
	v_add_f64 v[20:21], v[36:37], -v[9:10]
	v_add_f64 v[22:23], v[38:39], -v[11:12]
	;; [unrolled: 1-line block ×10, first 2 shown]
	v_and_or_b32 v12, 0xf0, v0, v81
	v_and_or_b32 v13, 0x1f0, v1, v81
	;; [unrolled: 1-line block ×5, first 2 shown]
	v_lshlrev_b32_e32 v12, 4, v12
	v_lshlrev_b32_e32 v13, 4, v13
	;; [unrolled: 1-line block ×5, first 2 shown]
	v_add3_u32 v12, 0, v12, v76
	v_add3_u32 v13, 0, v13, v76
	v_fma_f64 v[0:1], v[36:37], 2.0, -v[20:21]
	v_fma_f64 v[2:3], v[38:39], 2.0, -v[22:23]
	;; [unrolled: 1-line block ×10, first 2 shown]
	v_add3_u32 v14, 0, v14, v76
	v_add3_u32 v15, 0, v15, v76
	;; [unrolled: 1-line block ×3, first 2 shown]
	ds_write_b128 v12, v[20:23] offset:128
	ds_write_b128 v12, v[0:3]
	ds_write_b128 v13, v[8:11]
	ds_write_b128 v13, v[24:27] offset:128
	ds_write_b128 v14, v[36:39]
	ds_write_b128 v14, v[28:31] offset:128
	;; [unrolled: 2-line block ×4, first 2 shown]
	s_waitcnt lgkmcnt(0)
	s_barrier
	buffer_gl0_inv
                                        ; implicit-def: $vgpr50_vgpr51
	s_and_saveexec_b32 s1, s0
	s_cbranch_execz .LBB0_21
; %bb.20:
	ds_read_b128 v[0:3], v73
	ds_read_b128 v[20:23], v75 offset:1280
	ds_read_b128 v[8:11], v75 offset:2560
	;; [unrolled: 1-line block ×10, first 2 shown]
.LBB0_21:
	s_or_b32 exec_lo, exec_lo, s1
	s_waitcnt lgkmcnt(0)
	s_barrier
	buffer_gl0_inv
	s_and_saveexec_b32 s26, s0
	s_cbranch_execz .LBB0_23
; %bb.22:
	v_and_b32_e32 v79, 15, v56
	s_mov_b32 s20, 0xbb3a28a1
	s_mov_b32 s22, 0xf8bb580b
	;; [unrolled: 1-line block ×4, first 2 shown]
	v_mul_u32_u24_e32 v12, 10, v79
	s_mov_b32 s21, 0xbfe82f19
	s_mov_b32 s23, 0x3fe14ced
	s_mov_b32 s25, 0xbfd207e7
	s_mov_b32 s29, 0xbfe14ced
	v_lshlrev_b32_e32 v12, 4, v12
	s_mov_b32 s28, s22
	s_mov_b32 s17, 0xbfefac9e
	;; [unrolled: 1-line block ×4, first 2 shown]
	s_clause 0x9
	global_load_dwordx4 v[59:62], v12, s[12:13] offset:288
	global_load_dwordx4 v[80:83], v12, s[12:13] offset:304
	;; [unrolled: 1-line block ×10, first 2 shown]
	s_mov_b32 s35, 0x3fd207e7
	s_mov_b32 s34, s24
	;; [unrolled: 1-line block ×14, first 2 shown]
	s_waitcnt vmcnt(9)
	v_mul_f64 v[57:58], v[30:31], v[61:62]
	v_mul_f64 v[61:62], v[28:29], v[61:62]
	s_waitcnt vmcnt(8)
	v_mul_f64 v[108:109], v[42:43], v[82:83]
	s_waitcnt vmcnt(6)
	;; [unrolled: 2-line block ×4, first 2 shown]
	v_mul_f64 v[116:117], v[50:51], v[98:99]
	v_mul_f64 v[90:91], v[32:33], v[90:91]
	;; [unrolled: 1-line block ×4, first 2 shown]
	s_waitcnt vmcnt(2)
	v_mul_f64 v[120:121], v[46:47], v[106:107]
	v_mul_f64 v[106:107], v[44:45], v[106:107]
	s_waitcnt vmcnt(1)
	v_mul_f64 v[63:64], v[10:11], v[18:19]
	v_mul_f64 v[67:68], v[8:9], v[18:19]
	;; [unrolled: 3-line block ×3, first 2 shown]
	v_mul_f64 v[110:111], v[38:39], v[86:87]
	v_mul_f64 v[86:87], v[36:37], v[86:87]
	;; [unrolled: 1-line block ×5, first 2 shown]
	v_fma_f64 v[57:58], v[28:29], v[59:60], v[57:58]
	v_fma_f64 v[59:60], v[30:31], v[59:60], -v[61:62]
	v_fma_f64 v[40:41], v[40:41], v[80:81], v[108:109]
	v_fma_f64 v[28:29], v[32:33], v[88:89], v[112:113]
	;; [unrolled: 1-line block ×4, first 2 shown]
	v_fma_f64 v[30:31], v[34:35], v[88:89], -v[90:91]
	v_fma_f64 v[34:35], v[22:23], v[92:93], -v[94:95]
	;; [unrolled: 1-line block ×3, first 2 shown]
	v_fma_f64 v[20:21], v[44:45], v[104:105], v[120:121]
	v_fma_f64 v[22:23], v[46:47], v[104:105], -v[106:107]
	v_fma_f64 v[8:9], v[8:9], v[16:17], v[63:64]
	v_fma_f64 v[10:11], v[10:11], v[16:17], -v[67:68]
	;; [unrolled: 2-line block ×4, first 2 shown]
	v_fma_f64 v[32:33], v[42:43], v[80:81], -v[82:83]
	v_fma_f64 v[24:25], v[24:25], v[100:101], v[118:119]
	v_fma_f64 v[26:27], v[26:27], v[100:101], -v[102:103]
	v_lshrrev_b32_e32 v42, 4, v56
	v_add_f64 v[44:45], v[57:58], -v[40:41]
	v_mul_u32_u24_e32 v42, 0xb0, v42
	v_add_f64 v[95:96], v[57:58], v[40:41]
	v_add_f64 v[16:17], v[61:62], -v[14:15]
	v_add_f64 v[67:68], v[61:62], v[14:15]
	v_add_f64 v[61:62], v[0:1], v[61:62]
	v_add_f64 v[46:47], v[34:35], -v[18:19]
	v_add_f64 v[65:66], v[34:35], v[18:19]
	v_add_f64 v[34:35], v[2:3], v[34:35]
	v_or_b32_e32 v247, v42, v79
	v_add_f64 v[87:88], v[8:9], -v[4:5]
	v_add_f64 v[89:90], v[10:11], v[6:7]
	v_add_f64 v[91:92], v[10:11], -v[6:7]
	v_add_f64 v[93:94], v[8:9], v[4:5]
	v_add_f64 v[12:13], v[36:37], -v[28:29]
	v_add_f64 v[42:43], v[38:39], -v[30:31]
	v_add_f64 v[48:49], v[59:60], -v[32:33]
	v_add_f64 v[50:51], v[24:25], -v[20:21]
	v_add_f64 v[63:64], v[26:27], -v[22:23]
	v_add_f64 v[69:70], v[38:39], v[30:31]
	v_add_f64 v[79:80], v[59:60], v[32:33]
	v_mul_f64 v[105:106], v[44:45], s[14:15]
	v_add_f64 v[81:82], v[26:27], v[22:23]
	v_add_f64 v[83:84], v[24:25], v[20:21]
	v_mul_f64 v[99:100], v[16:17], s[24:25]
	v_mul_f64 v[103:104], v[16:17], s[20:21]
	v_add_f64 v[8:9], v[61:62], v[8:9]
	v_mul_f64 v[109:110], v[46:47], s[24:25]
	v_mul_f64 v[115:116], v[16:17], s[28:29]
	v_add_f64 v[10:11], v[34:35], v[10:11]
	v_mul_f64 v[117:118], v[46:47], s[20:21]
	v_mul_f64 v[123:124], v[46:47], s[28:29]
	v_mul_f64 v[107:108], v[16:17], s[16:17]
	v_mul_f64 v[121:122], v[46:47], s[16:17]
	;; [unrolled: 1-line block ×9, first 2 shown]
	s_mov_b32 s15, 0xbfed1bb4
	v_mul_f64 v[167:168], v[48:49], s[16:17]
	v_mul_f64 v[169:170], v[48:49], s[20:21]
	;; [unrolled: 1-line block ×6, first 2 shown]
	v_add_f64 v[8:9], v[8:9], v[24:25]
	v_add_f64 v[85:86], v[36:37], v[28:29]
	v_mul_f64 v[125:126], v[44:45], s[16:17]
	v_add_f64 v[10:11], v[10:11], v[26:27]
	v_mul_f64 v[127:128], v[12:13], s[24:25]
	v_mul_f64 v[129:130], v[44:45], s[20:21]
	;; [unrolled: 1-line block ×18, first 2 shown]
	v_add_f64 v[8:9], v[8:9], v[36:37]
	v_mul_f64 v[42:43], v[42:43], s[20:21]
	v_mul_f64 v[151:152], v[87:88], s[22:23]
	v_add_f64 v[10:11], v[10:11], v[38:39]
	v_mul_f64 v[153:154], v[87:88], s[30:31]
	v_mul_f64 v[155:156], v[87:88], s[34:35]
	;; [unrolled: 1-line block ×7, first 2 shown]
	v_fma_f64 v[173:174], v[65:66], s[18:19], v[99:100]
	v_fma_f64 v[99:100], v[65:66], s[18:19], -v[99:100]
	v_fma_f64 v[175:176], v[65:66], s[6:7], v[103:104]
	v_fma_f64 v[103:104], v[65:66], s[6:7], -v[103:104]
	v_fma_f64 v[179:180], v[67:68], s[18:19], -v[109:110]
	v_fma_f64 v[109:110], v[67:68], s[18:19], v[109:110]
	v_fma_f64 v[181:182], v[65:66], s[8:9], v[115:116]
	v_fma_f64 v[183:184], v[67:68], s[6:7], -v[117:118]
	v_fma_f64 v[115:116], v[65:66], s[8:9], -v[115:116]
	v_fma_f64 v[117:118], v[67:68], s[6:7], v[117:118]
	v_fma_f64 v[187:188], v[67:68], s[8:9], -v[123:124]
	v_fma_f64 v[123:124], v[67:68], s[8:9], v[123:124]
	v_fma_f64 v[177:178], v[65:66], s[4:5], v[107:108]
	v_fma_f64 v[107:108], v[65:66], s[4:5], -v[107:108]
	v_fma_f64 v[185:186], v[67:68], s[4:5], -v[121:122]
	v_fma_f64 v[121:122], v[67:68], s[4:5], v[121:122]
	v_fma_f64 v[237:238], v[93:94], s[18:19], -v[163:164]
	v_fma_f64 v[36:37], v[93:94], s[18:19], v[163:164]
	;; [unrolled: 2-line block ×8, first 2 shown]
	v_fma_f64 v[95:96], v[65:66], s[0:1], v[16:17]
	v_fma_f64 v[16:17], v[65:66], s[0:1], -v[16:17]
	v_fma_f64 v[65:66], v[67:68], s[0:1], -v[46:47]
	v_fma_f64 v[46:47], v[67:68], s[0:1], v[46:47]
	v_add_f64 v[10:11], v[10:11], v[59:60]
	v_add_f64 v[8:9], v[8:9], v[57:58]
	v_fma_f64 v[189:190], v[79:80], s[4:5], v[125:126]
	v_fma_f64 v[125:126], v[79:80], s[4:5], -v[125:126]
	v_fma_f64 v[191:192], v[79:80], s[0:1], v[105:106]
	v_fma_f64 v[105:106], v[79:80], s[0:1], -v[105:106]
	;; [unrolled: 2-line block ×15, first 2 shown]
	v_fma_f64 v[24:25], v[83:84], s[6:7], -v[61:62]
	v_fma_f64 v[61:62], v[83:84], s[6:7], v[61:62]
	v_fma_f64 v[81:82], v[83:84], s[8:9], -v[141:142]
	v_fma_f64 v[141:142], v[83:84], s[8:9], v[141:142]
	;; [unrolled: 2-line block ×10, first 2 shown]
	v_fma_f64 v[85:86], v[89:90], s[8:9], v[151:152]
	v_fma_f64 v[151:152], v[89:90], s[8:9], -v[151:152]
	v_fma_f64 v[227:228], v[89:90], s[4:5], v[153:154]
	v_fma_f64 v[153:154], v[89:90], s[4:5], -v[153:154]
	;; [unrolled: 2-line block ×4, first 2 shown]
	v_fma_f64 v[233:234], v[93:94], s[8:9], -v[159:160]
	v_fma_f64 v[159:160], v[93:94], s[8:9], v[159:160]
	v_fma_f64 v[235:236], v[93:94], s[4:5], -v[161:162]
	v_fma_f64 v[161:162], v[93:94], s[4:5], v[161:162]
	v_fma_f64 v[67:68], v[89:90], s[0:1], v[87:88]
	v_fma_f64 v[87:88], v[89:90], s[0:1], -v[87:88]
	v_fma_f64 v[89:90], v[93:94], s[0:1], -v[91:92]
	v_fma_f64 v[57:58], v[93:94], s[0:1], v[91:92]
	v_add_f64 v[59:60], v[2:3], v[173:174]
	v_add_f64 v[91:92], v[0:1], v[179:180]
	;; [unrolled: 1-line block ×110, first 2 shown]
	v_lshlrev_b32_e32 v12, 4, v247
	v_add3_u32 v12, 0, v12, v76
	ds_write_b128 v12, v[32:35] offset:256
	ds_write_b128 v12, v[28:31] offset:768
	;; [unrolled: 1-line block ×9, first 2 shown]
	ds_write_b128 v12, v[44:47]
	ds_write_b128 v12, v[14:17] offset:2560
.LBB0_23:
	s_or_b32 exec_lo, exec_lo, s26
	v_lshlrev_b32_e32 v0, 2, v56
	v_mov_b32_e32 v1, 0
	s_waitcnt lgkmcnt(0)
	s_barrier
	buffer_gl0_inv
	s_mov_b32 s4, 0x134454ff
	v_lshlrev_b64 v[2:3], 4, v[0:1]
	v_lshlrev_b32_e32 v0, 2, v77
	s_mov_b32 s5, 0xbfee6f0e
	s_mov_b32 s9, 0x3fee6f0e
	;; [unrolled: 1-line block ×4, first 2 shown]
	v_add_co_u32 v4, s0, s12, v2
	v_add_co_ci_u32_e64 v5, s0, s13, v3, s0
	v_lshlrev_b64 v[16:17], 4, v[0:1]
	v_add_co_u32 v2, s0, 0x800, v4
	v_add_co_ci_u32_e64 v3, s0, 0, v5, s0
	v_add_co_u32 v14, s0, 0xae0, v4
	v_add_co_ci_u32_e64 v15, s0, 0, v5, s0
	;; [unrolled: 2-line block ×3, first 2 shown]
	s_clause 0x2
	global_load_dwordx4 v[2:5], v[2:3], off offset:736
	global_load_dwordx4 v[6:9], v[14:15], off offset:32
	;; [unrolled: 1-line block ×3, first 2 shown]
	v_add_co_u32 v18, s0, 0x800, v0
	v_add_co_ci_u32_e64 v19, s0, 0, v20, s0
	v_add_co_u32 v30, s0, 0xae0, v0
	global_load_dwordx4 v[14:17], v[14:15], off offset:48
	v_add_co_ci_u32_e64 v31, s0, 0, v20, s0
	s_clause 0x3
	global_load_dwordx4 v[18:21], v[18:19], off offset:736
	global_load_dwordx4 v[22:25], v[30:31], off offset:16
	;; [unrolled: 1-line block ×4, first 2 shown]
	ds_read_b128 v[34:37], v75 offset:2816
	ds_read_b128 v[38:41], v75 offset:5632
	;; [unrolled: 1-line block ×8, first 2 shown]
	v_sub_nc_u32_e32 v0, v78, v74
	s_mov_b32 s0, 0x4755a5e
	s_mov_b32 s1, 0xbfe2cf23
	;; [unrolled: 1-line block ×3, first 2 shown]
	v_lshl_add_u32 v0, v71, 4, v0
	s_waitcnt vmcnt(7) lgkmcnt(7)
	v_mul_f64 v[50:51], v[36:37], v[4:5]
	s_waitcnt vmcnt(6) lgkmcnt(5)
	v_mul_f64 v[76:77], v[44:45], v[8:9]
	s_waitcnt vmcnt(5)
	v_mul_f64 v[69:70], v[40:41], v[12:13]
	v_mul_f64 v[12:13], v[38:39], v[12:13]
	;; [unrolled: 1-line block ×4, first 2 shown]
	s_waitcnt vmcnt(4) lgkmcnt(4)
	v_mul_f64 v[83:84], v[46:47], v[16:17]
	v_mul_f64 v[16:17], v[48:49], v[16:17]
	s_waitcnt vmcnt(3) lgkmcnt(3)
	v_mul_f64 v[85:86], v[59:60], v[20:21]
	v_mul_f64 v[20:21], v[57:58], v[20:21]
	;; [unrolled: 3-line block ×5, first 2 shown]
	v_fma_f64 v[34:35], v[34:35], v[2:3], v[50:51]
	v_fma_f64 v[38:39], v[38:39], v[10:11], v[69:70]
	v_fma_f64 v[10:11], v[40:41], v[10:11], -v[12:13]
	v_fma_f64 v[12:13], v[42:43], v[6:7], v[76:77]
	v_fma_f64 v[42:43], v[44:45], v[6:7], -v[8:9]
	v_fma_f64 v[36:37], v[36:37], v[2:3], -v[4:5]
	ds_read_b128 v[2:5], v73
	ds_read_b128 v[6:9], v75 offset:1408
	v_fma_f64 v[40:41], v[48:49], v[14:15], -v[83:84]
	v_fma_f64 v[14:15], v[46:47], v[14:15], v[16:17]
	v_fma_f64 v[16:17], v[57:58], v[18:19], v[85:86]
	v_fma_f64 v[18:19], v[59:60], v[18:19], -v[20:21]
	v_fma_f64 v[20:21], v[61:62], v[22:23], v[87:88]
	v_fma_f64 v[22:23], v[63:64], v[22:23], -v[24:25]
	;; [unrolled: 2-line block ×4, first 2 shown]
	s_waitcnt lgkmcnt(0)
	s_barrier
	buffer_gl0_inv
	v_add_f64 v[50:51], v[34:35], -v[38:39]
	v_add_f64 v[61:62], v[38:39], -v[34:35]
	v_add_f64 v[44:45], v[38:39], v[12:13]
	v_add_f64 v[67:68], v[10:11], v[42:43]
	;; [unrolled: 1-line block ×4, first 2 shown]
	v_add_f64 v[73:74], v[36:37], -v[10:11]
	v_add_f64 v[78:79], v[36:37], v[40:41]
	v_add_f64 v[59:60], v[34:35], v[14:15]
	v_add_f64 v[57:58], v[14:15], -v[12:13]
	v_add_f64 v[84:85], v[6:7], v[16:17]
	v_add_f64 v[104:105], v[8:9], v[18:19]
	;; [unrolled: 3-line block ×3, first 2 shown]
	v_add_f64 v[86:87], v[16:17], v[28:29]
	v_add_f64 v[92:93], v[18:19], v[30:31]
	v_add_f64 v[63:64], v[12:13], -v[14:15]
	v_add_f64 v[34:35], v[34:35], -v[14:15]
	;; [unrolled: 1-line block ×7, first 2 shown]
	v_fma_f64 v[44:45], v[44:45], -0.5, v[2:3]
	v_fma_f64 v[67:68], v[67:68], -0.5, v[4:5]
	v_add_f64 v[88:89], v[18:19], -v[30:31]
	v_add_f64 v[96:97], v[16:17], -v[20:21]
	;; [unrolled: 1-line block ×3, first 2 shown]
	v_fma_f64 v[4:5], v[78:79], -0.5, v[4:5]
	v_fma_f64 v[2:3], v[59:60], -0.5, v[2:3]
	v_add_f64 v[16:17], v[16:17], -v[28:29]
	v_add_f64 v[32:33], v[32:33], v[38:39]
	v_add_f64 v[38:39], v[50:51], v[57:58]
	v_add_f64 v[94:95], v[22:23], -v[26:27]
	v_fma_f64 v[82:83], v[82:83], -0.5, v[6:7]
	v_fma_f64 v[50:51], v[90:91], -0.5, v[8:9]
	v_add_f64 v[98:99], v[28:29], -v[24:25]
	v_add_f64 v[106:107], v[20:21], -v[24:25]
	v_fma_f64 v[6:7], v[86:87], -0.5, v[6:7]
	v_fma_f64 v[8:9], v[92:93], -0.5, v[8:9]
	v_add_f64 v[10:11], v[65:66], v[10:11]
	v_add_f64 v[108:109], v[18:19], -v[22:23]
	v_add_f64 v[18:19], v[22:23], -v[18:19]
	;; [unrolled: 1-line block ×3, first 2 shown]
	v_add_f64 v[20:21], v[84:85], v[20:21]
	v_add_f64 v[22:23], v[104:105], v[22:23]
	;; [unrolled: 1-line block ×5, first 2 shown]
	v_fma_f64 v[73:74], v[46:47], s[4:5], v[44:45]
	v_fma_f64 v[80:81], v[34:35], s[8:9], v[67:68]
	;; [unrolled: 1-line block ×8, first 2 shown]
	v_add_f64 v[59:60], v[30:31], -v[26:27]
	v_fma_f64 v[86:87], v[88:89], s[4:5], v[82:83]
	v_fma_f64 v[92:93], v[16:17], s[8:9], v[50:51]
	v_add_f64 v[102:103], v[24:25], -v[28:29]
	v_add_f64 v[63:64], v[96:97], v[98:99]
	v_fma_f64 v[90:91], v[94:95], s[8:9], v[6:7]
	v_fma_f64 v[96:97], v[106:107], s[4:5], v[8:9]
	v_fma_f64 v[82:83], v[88:89], s[8:9], v[82:83]
	v_fma_f64 v[6:7], v[94:95], s[4:5], v[6:7]
	v_fma_f64 v[8:9], v[106:107], s[8:9], v[8:9]
	v_fma_f64 v[50:51], v[16:17], s[4:5], v[50:51]
	v_add_f64 v[12:13], v[32:33], v[12:13]
	v_add_f64 v[10:11], v[10:11], v[42:43]
	;; [unrolled: 1-line block ×5, first 2 shown]
	v_fma_f64 v[22:23], v[48:49], s[0:1], v[73:74]
	v_fma_f64 v[42:43], v[69:70], s[6:7], v[80:81]
	;; [unrolled: 1-line block ×8, first 2 shown]
	v_add_f64 v[59:60], v[108:109], v[59:60]
	v_fma_f64 v[48:49], v[94:95], s[0:1], v[86:87]
	v_fma_f64 v[76:77], v[106:107], s[6:7], v[92:93]
	v_add_f64 v[65:66], v[100:101], v[102:103]
	v_fma_f64 v[69:70], v[88:89], s[0:1], v[90:91]
	v_fma_f64 v[80:81], v[16:17], s[6:7], v[96:97]
	v_fma_f64 v[67:68], v[94:95], s[6:7], v[82:83]
	v_fma_f64 v[73:74], v[88:89], s[6:7], v[6:7]
	v_fma_f64 v[82:83], v[16:17], s[0:1], v[8:9]
	v_fma_f64 v[50:51], v[106:107], s[0:1], v[50:51]
	s_mov_b32 s0, 0x372fe950
	s_mov_b32 s1, 0x3fd3c6ef
	v_add_f64 v[2:3], v[12:13], v[14:15]
	v_add_f64 v[4:5], v[10:11], v[40:41]
	;; [unrolled: 1-line block ×4, first 2 shown]
	v_fma_f64 v[10:11], v[38:39], s[0:1], v[22:23]
	v_fma_f64 v[12:13], v[61:62], s[0:1], v[42:43]
	;; [unrolled: 1-line block ×16, first 2 shown]
	v_add_nc_u32_e32 v42, 0x1000, v0
	v_add_nc_u32_e32 v43, 0x1800, v0
	;; [unrolled: 1-line block ×4, first 2 shown]
	ds_write_b128 v75, v[2:5]
	ds_write_b128 v75, v[6:9] offset:1408
	ds_write_b128 v75, v[10:13] offset:2816
	;; [unrolled: 1-line block ×5, first 2 shown]
	ds_write2_b64 v42, v[26:27], v[34:35] offset0:16 offset1:17
	ds_write2_b64 v43, v[30:31], v[36:37] offset0:112 offset1:113
	;; [unrolled: 1-line block ×4, first 2 shown]
	s_waitcnt lgkmcnt(0)
	s_barrier
	buffer_gl0_inv
	s_and_saveexec_b32 s0, vcc_lo
	s_cbranch_execz .LBB0_25
; %bb.24:
	v_mul_lo_u32 v0, s3, v54
	v_mul_lo_u32 v4, s2, v55
	v_mad_u64_u32 v[2:3], null, s2, v54, 0
	v_lshl_add_u32 v28, v56, 4, v72
	v_mov_b32_e32 v57, v1
	v_lshlrev_b64 v[10:11], 4, v[52:53]
	v_lshlrev_b64 v[14:15], 4, v[56:57]
	v_add3_u32 v3, v3, v4, v0
	v_add_nc_u32_e32 v0, 0x58, v56
	v_lshlrev_b64 v[12:13], 4, v[2:3]
	ds_read_b128 v[2:5], v28
	ds_read_b128 v[6:9], v28 offset:1408
	v_add_co_u32 v16, vcc_lo, s10, v12
	v_add_co_ci_u32_e32 v17, vcc_lo, s11, v13, vcc_lo
	v_lshlrev_b64 v[12:13], 4, v[0:1]
	v_add_co_u32 v30, vcc_lo, v16, v10
	v_add_co_ci_u32_e32 v31, vcc_lo, v17, v11, vcc_lo
	v_add_nc_u32_e32 v0, 0xb0, v56
	v_add_co_u32 v10, vcc_lo, v30, v14
	v_add_co_ci_u32_e32 v11, vcc_lo, v31, v15, vcc_lo
	v_add_co_u32 v12, vcc_lo, v30, v12
	v_add_co_ci_u32_e32 v13, vcc_lo, v31, v13, vcc_lo
	s_waitcnt lgkmcnt(1)
	global_store_dwordx4 v[10:11], v[2:5], off
	s_waitcnt lgkmcnt(0)
	global_store_dwordx4 v[12:13], v[6:9], off
	v_lshlrev_b64 v[14:15], 4, v[0:1]
	v_add_nc_u32_e32 v0, 0x108, v56
	ds_read_b128 v[2:5], v28 offset:2816
	ds_read_b128 v[6:9], v28 offset:4224
	;; [unrolled: 1-line block ×3, first 2 shown]
	v_lshlrev_b64 v[16:17], 4, v[0:1]
	v_add_nc_u32_e32 v0, 0x160, v56
	v_add_co_u32 v14, vcc_lo, v30, v14
	v_add_co_ci_u32_e32 v15, vcc_lo, v31, v15, vcc_lo
	v_lshlrev_b64 v[18:19], 4, v[0:1]
	v_add_nc_u32_e32 v0, 0x1b8, v56
	v_add_co_u32 v16, vcc_lo, v30, v16
	v_add_co_ci_u32_e32 v17, vcc_lo, v31, v17, vcc_lo
	v_lshlrev_b64 v[20:21], 4, v[0:1]
	v_add_nc_u32_e32 v0, 0x210, v56
	v_add_co_u32 v18, vcc_lo, v30, v18
	s_waitcnt lgkmcnt(2)
	global_store_dwordx4 v[14:15], v[2:5], off
	s_waitcnt lgkmcnt(1)
	global_store_dwordx4 v[16:17], v[6:9], off
	v_add_co_ci_u32_e32 v19, vcc_lo, v31, v19, vcc_lo
	v_lshlrev_b64 v[6:7], 4, v[0:1]
	v_add_co_u32 v22, vcc_lo, v30, v20
	v_add_nc_u32_e32 v0, 0x268, v56
	v_add_co_ci_u32_e32 v23, vcc_lo, v31, v21, vcc_lo
	v_add_co_u32 v24, vcc_lo, v30, v6
	s_waitcnt lgkmcnt(0)
	global_store_dwordx4 v[18:19], v[10:13], off
	ds_read_b128 v[2:5], v28 offset:7040
	v_add_co_ci_u32_e32 v25, vcc_lo, v31, v7, vcc_lo
	ds_read_b128 v[6:9], v28 offset:8448
	ds_read_b128 v[10:13], v28 offset:9856
	;; [unrolled: 1-line block ×4, first 2 shown]
	v_lshlrev_b64 v[26:27], 4, v[0:1]
	v_add_nc_u32_e32 v0, 0x2c0, v56
	v_lshlrev_b64 v[28:29], 4, v[0:1]
	v_add_nc_u32_e32 v0, 0x318, v56
	v_add_co_u32 v26, vcc_lo, v30, v26
	v_add_co_ci_u32_e32 v27, vcc_lo, v31, v27, vcc_lo
	v_lshlrev_b64 v[0:1], 4, v[0:1]
	v_add_co_u32 v28, vcc_lo, v30, v28
	v_add_co_ci_u32_e32 v29, vcc_lo, v31, v29, vcc_lo
	v_add_co_u32 v0, vcc_lo, v30, v0
	v_add_co_ci_u32_e32 v1, vcc_lo, v31, v1, vcc_lo
	s_waitcnt lgkmcnt(4)
	global_store_dwordx4 v[22:23], v[2:5], off
	s_waitcnt lgkmcnt(3)
	global_store_dwordx4 v[24:25], v[6:9], off
	;; [unrolled: 2-line block ×5, first 2 shown]
.LBB0_25:
	s_endpgm
	.section	.rodata,"a",@progbits
	.p2align	6, 0x0
	.amdhsa_kernel fft_rtc_back_len880_factors_2_2_2_2_11_5_wgs_176_tpt_88_halfLds_dp_op_CI_CI_unitstride_sbrr_C2R_dirReg
		.amdhsa_group_segment_fixed_size 0
		.amdhsa_private_segment_fixed_size 0
		.amdhsa_kernarg_size 104
		.amdhsa_user_sgpr_count 6
		.amdhsa_user_sgpr_private_segment_buffer 1
		.amdhsa_user_sgpr_dispatch_ptr 0
		.amdhsa_user_sgpr_queue_ptr 0
		.amdhsa_user_sgpr_kernarg_segment_ptr 1
		.amdhsa_user_sgpr_dispatch_id 0
		.amdhsa_user_sgpr_flat_scratch_init 0
		.amdhsa_user_sgpr_private_segment_size 0
		.amdhsa_wavefront_size32 1
		.amdhsa_uses_dynamic_stack 0
		.amdhsa_system_sgpr_private_segment_wavefront_offset 0
		.amdhsa_system_sgpr_workgroup_id_x 1
		.amdhsa_system_sgpr_workgroup_id_y 0
		.amdhsa_system_sgpr_workgroup_id_z 0
		.amdhsa_system_sgpr_workgroup_info 0
		.amdhsa_system_vgpr_workitem_id 0
		.amdhsa_next_free_vgpr 248
		.amdhsa_next_free_sgpr 36
		.amdhsa_reserve_vcc 1
		.amdhsa_reserve_flat_scratch 0
		.amdhsa_float_round_mode_32 0
		.amdhsa_float_round_mode_16_64 0
		.amdhsa_float_denorm_mode_32 3
		.amdhsa_float_denorm_mode_16_64 3
		.amdhsa_dx10_clamp 1
		.amdhsa_ieee_mode 1
		.amdhsa_fp16_overflow 0
		.amdhsa_workgroup_processor_mode 1
		.amdhsa_memory_ordered 1
		.amdhsa_forward_progress 0
		.amdhsa_shared_vgpr_count 0
		.amdhsa_exception_fp_ieee_invalid_op 0
		.amdhsa_exception_fp_denorm_src 0
		.amdhsa_exception_fp_ieee_div_zero 0
		.amdhsa_exception_fp_ieee_overflow 0
		.amdhsa_exception_fp_ieee_underflow 0
		.amdhsa_exception_fp_ieee_inexact 0
		.amdhsa_exception_int_div_zero 0
	.end_amdhsa_kernel
	.text
.Lfunc_end0:
	.size	fft_rtc_back_len880_factors_2_2_2_2_11_5_wgs_176_tpt_88_halfLds_dp_op_CI_CI_unitstride_sbrr_C2R_dirReg, .Lfunc_end0-fft_rtc_back_len880_factors_2_2_2_2_11_5_wgs_176_tpt_88_halfLds_dp_op_CI_CI_unitstride_sbrr_C2R_dirReg
                                        ; -- End function
	.section	.AMDGPU.csdata,"",@progbits
; Kernel info:
; codeLenInByte = 10704
; NumSgprs: 38
; NumVgprs: 248
; ScratchSize: 0
; MemoryBound: 0
; FloatMode: 240
; IeeeMode: 1
; LDSByteSize: 0 bytes/workgroup (compile time only)
; SGPRBlocks: 4
; VGPRBlocks: 30
; NumSGPRsForWavesPerEU: 38
; NumVGPRsForWavesPerEU: 248
; Occupancy: 4
; WaveLimiterHint : 1
; COMPUTE_PGM_RSRC2:SCRATCH_EN: 0
; COMPUTE_PGM_RSRC2:USER_SGPR: 6
; COMPUTE_PGM_RSRC2:TRAP_HANDLER: 0
; COMPUTE_PGM_RSRC2:TGID_X_EN: 1
; COMPUTE_PGM_RSRC2:TGID_Y_EN: 0
; COMPUTE_PGM_RSRC2:TGID_Z_EN: 0
; COMPUTE_PGM_RSRC2:TIDIG_COMP_CNT: 0
	.text
	.p2alignl 6, 3214868480
	.fill 48, 4, 3214868480
	.type	__hip_cuid_c51afb0c9372c208,@object ; @__hip_cuid_c51afb0c9372c208
	.section	.bss,"aw",@nobits
	.globl	__hip_cuid_c51afb0c9372c208
__hip_cuid_c51afb0c9372c208:
	.byte	0                               ; 0x0
	.size	__hip_cuid_c51afb0c9372c208, 1

	.ident	"AMD clang version 19.0.0git (https://github.com/RadeonOpenCompute/llvm-project roc-6.4.0 25133 c7fe45cf4b819c5991fe208aaa96edf142730f1d)"
	.section	".note.GNU-stack","",@progbits
	.addrsig
	.addrsig_sym __hip_cuid_c51afb0c9372c208
	.amdgpu_metadata
---
amdhsa.kernels:
  - .args:
      - .actual_access:  read_only
        .address_space:  global
        .offset:         0
        .size:           8
        .value_kind:     global_buffer
      - .offset:         8
        .size:           8
        .value_kind:     by_value
      - .actual_access:  read_only
        .address_space:  global
        .offset:         16
        .size:           8
        .value_kind:     global_buffer
      - .actual_access:  read_only
        .address_space:  global
        .offset:         24
        .size:           8
        .value_kind:     global_buffer
      - .actual_access:  read_only
        .address_space:  global
        .offset:         32
        .size:           8
        .value_kind:     global_buffer
      - .offset:         40
        .size:           8
        .value_kind:     by_value
      - .actual_access:  read_only
        .address_space:  global
        .offset:         48
        .size:           8
        .value_kind:     global_buffer
      - .actual_access:  read_only
        .address_space:  global
        .offset:         56
        .size:           8
        .value_kind:     global_buffer
      - .offset:         64
        .size:           4
        .value_kind:     by_value
      - .actual_access:  read_only
        .address_space:  global
        .offset:         72
        .size:           8
        .value_kind:     global_buffer
      - .actual_access:  read_only
        .address_space:  global
        .offset:         80
        .size:           8
        .value_kind:     global_buffer
      - .actual_access:  read_only
        .address_space:  global
        .offset:         88
        .size:           8
        .value_kind:     global_buffer
      - .actual_access:  write_only
        .address_space:  global
        .offset:         96
        .size:           8
        .value_kind:     global_buffer
    .group_segment_fixed_size: 0
    .kernarg_segment_align: 8
    .kernarg_segment_size: 104
    .language:       OpenCL C
    .language_version:
      - 2
      - 0
    .max_flat_workgroup_size: 176
    .name:           fft_rtc_back_len880_factors_2_2_2_2_11_5_wgs_176_tpt_88_halfLds_dp_op_CI_CI_unitstride_sbrr_C2R_dirReg
    .private_segment_fixed_size: 0
    .sgpr_count:     38
    .sgpr_spill_count: 0
    .symbol:         fft_rtc_back_len880_factors_2_2_2_2_11_5_wgs_176_tpt_88_halfLds_dp_op_CI_CI_unitstride_sbrr_C2R_dirReg.kd
    .uniform_work_group_size: 1
    .uses_dynamic_stack: false
    .vgpr_count:     248
    .vgpr_spill_count: 0
    .wavefront_size: 32
    .workgroup_processor_mode: 1
amdhsa.target:   amdgcn-amd-amdhsa--gfx1030
amdhsa.version:
  - 1
  - 2
...

	.end_amdgpu_metadata
